;; amdgpu-corpus repo=ROCm/rocFFT kind=compiled arch=gfx950 opt=O3
	.text
	.amdgcn_target "amdgcn-amd-amdhsa--gfx950"
	.amdhsa_code_object_version 6
	.protected	fft_rtc_fwd_len308_factors_11_7_4_wgs_44_tpt_44_sp_op_CI_CI_sbrr_dirReg ; -- Begin function fft_rtc_fwd_len308_factors_11_7_4_wgs_44_tpt_44_sp_op_CI_CI_sbrr_dirReg
	.globl	fft_rtc_fwd_len308_factors_11_7_4_wgs_44_tpt_44_sp_op_CI_CI_sbrr_dirReg
	.p2align	8
	.type	fft_rtc_fwd_len308_factors_11_7_4_wgs_44_tpt_44_sp_op_CI_CI_sbrr_dirReg,@function
fft_rtc_fwd_len308_factors_11_7_4_wgs_44_tpt_44_sp_op_CI_CI_sbrr_dirReg: ; @fft_rtc_fwd_len308_factors_11_7_4_wgs_44_tpt_44_sp_op_CI_CI_sbrr_dirReg
; %bb.0:
	s_load_dwordx4 s[12:15], s[0:1], 0x18
	s_load_dwordx4 s[8:11], s[0:1], 0x0
	;; [unrolled: 1-line block ×3, first 2 shown]
	v_mul_u32_u24_e32 v1, 0x5d2, v0
	v_add_u32_sdwa v6, s2, v1 dst_sel:DWORD dst_unused:UNUSED_PAD src0_sel:DWORD src1_sel:WORD_1
	s_waitcnt lgkmcnt(0)
	s_load_dwordx2 s[18:19], s[12:13], 0x0
	s_load_dwordx2 s[16:17], s[14:15], 0x0
	v_mov_b32_e32 v4, 0
	v_cmp_lt_u64_e64 s[2:3], s[10:11], 2
	v_mov_b32_e32 v7, v4
	s_and_b64 vcc, exec, s[2:3]
	v_mov_b64_e32 v[2:3], 0
	s_cbranch_vccnz .LBB0_8
; %bb.1:
	s_load_dwordx2 s[2:3], s[0:1], 0x10
	s_add_u32 s20, s14, 8
	s_addc_u32 s21, s15, 0
	s_add_u32 s22, s12, 8
	s_addc_u32 s23, s13, 0
	s_waitcnt lgkmcnt(0)
	s_add_u32 s24, s2, 8
	v_mov_b64_e32 v[2:3], 0
	s_addc_u32 s25, s3, 0
	s_mov_b64 s[26:27], 1
	v_mov_b64_e32 v[24:25], v[2:3]
.LBB0_2:                                ; =>This Inner Loop Header: Depth=1
	s_load_dwordx2 s[28:29], s[24:25], 0x0
                                        ; implicit-def: $vgpr26_vgpr27
	s_waitcnt lgkmcnt(0)
	v_or_b32_e32 v5, s29, v7
	v_cmp_ne_u64_e32 vcc, 0, v[4:5]
	s_and_saveexec_b64 s[2:3], vcc
	s_xor_b64 s[30:31], exec, s[2:3]
	s_cbranch_execz .LBB0_4
; %bb.3:                                ;   in Loop: Header=BB0_2 Depth=1
	v_cvt_f32_u32_e32 v1, s28
	v_cvt_f32_u32_e32 v5, s29
	s_sub_u32 s2, 0, s28
	s_subb_u32 s3, 0, s29
	v_fmac_f32_e32 v1, 0x4f800000, v5
	v_rcp_f32_e32 v1, v1
	s_nop 0
	v_mul_f32_e32 v1, 0x5f7ffffc, v1
	v_mul_f32_e32 v5, 0x2f800000, v1
	v_trunc_f32_e32 v5, v5
	v_fmac_f32_e32 v1, 0xcf800000, v5
	v_cvt_u32_f32_e32 v5, v5
	v_cvt_u32_f32_e32 v1, v1
	v_mul_lo_u32 v8, s2, v5
	v_mul_hi_u32 v10, s2, v1
	v_mul_lo_u32 v9, s3, v1
	v_add_u32_e32 v10, v10, v8
	v_mul_lo_u32 v12, s2, v1
	v_add_u32_e32 v13, v10, v9
	v_mul_hi_u32 v8, v1, v12
	v_mul_hi_u32 v11, v1, v13
	v_mul_lo_u32 v10, v1, v13
	v_mov_b32_e32 v9, v4
	v_lshl_add_u64 v[8:9], v[8:9], 0, v[10:11]
	v_mul_hi_u32 v11, v5, v12
	v_mul_lo_u32 v12, v5, v12
	v_add_co_u32_e32 v8, vcc, v8, v12
	v_mul_hi_u32 v10, v5, v13
	s_nop 0
	v_addc_co_u32_e32 v8, vcc, v9, v11, vcc
	v_mov_b32_e32 v9, v4
	s_nop 0
	v_addc_co_u32_e32 v11, vcc, 0, v10, vcc
	v_mul_lo_u32 v10, v5, v13
	v_lshl_add_u64 v[8:9], v[8:9], 0, v[10:11]
	v_add_co_u32_e32 v1, vcc, v1, v8
	v_mul_lo_u32 v10, s2, v1
	s_nop 0
	v_addc_co_u32_e32 v5, vcc, v5, v9, vcc
	v_mul_lo_u32 v8, s2, v5
	v_mul_hi_u32 v9, s2, v1
	v_add_u32_e32 v8, v9, v8
	v_mul_lo_u32 v9, s3, v1
	v_add_u32_e32 v12, v8, v9
	v_mul_hi_u32 v14, v5, v10
	v_mul_lo_u32 v15, v5, v10
	v_mul_hi_u32 v9, v1, v12
	v_mul_lo_u32 v8, v1, v12
	v_mul_hi_u32 v10, v1, v10
	v_mov_b32_e32 v11, v4
	v_lshl_add_u64 v[8:9], v[10:11], 0, v[8:9]
	v_add_co_u32_e32 v8, vcc, v8, v15
	v_mul_hi_u32 v13, v5, v12
	s_nop 0
	v_addc_co_u32_e32 v8, vcc, v9, v14, vcc
	v_mul_lo_u32 v10, v5, v12
	s_nop 0
	v_addc_co_u32_e32 v11, vcc, 0, v13, vcc
	v_mov_b32_e32 v9, v4
	v_lshl_add_u64 v[8:9], v[8:9], 0, v[10:11]
	v_add_co_u32_e32 v1, vcc, v1, v8
	v_mul_hi_u32 v10, v6, v1
	s_nop 0
	v_addc_co_u32_e32 v5, vcc, v5, v9, vcc
	v_mad_u64_u32 v[8:9], s[2:3], v6, v5, 0
	v_mov_b32_e32 v11, v4
	v_lshl_add_u64 v[8:9], v[10:11], 0, v[8:9]
	v_mad_u64_u32 v[12:13], s[2:3], v7, v1, 0
	v_add_co_u32_e32 v1, vcc, v8, v12
	v_mad_u64_u32 v[10:11], s[2:3], v7, v5, 0
	s_nop 0
	v_addc_co_u32_e32 v8, vcc, v9, v13, vcc
	v_mov_b32_e32 v9, v4
	s_nop 0
	v_addc_co_u32_e32 v11, vcc, 0, v11, vcc
	v_lshl_add_u64 v[8:9], v[8:9], 0, v[10:11]
	v_mul_lo_u32 v1, s29, v8
	v_mul_lo_u32 v5, s28, v9
	v_mad_u64_u32 v[10:11], s[2:3], s28, v8, 0
	v_add3_u32 v1, v11, v5, v1
	v_sub_u32_e32 v5, v7, v1
	v_mov_b32_e32 v11, s29
	v_sub_co_u32_e32 v14, vcc, v6, v10
	v_lshl_add_u64 v[12:13], v[8:9], 0, 1
	s_nop 0
	v_subb_co_u32_e64 v5, s[2:3], v5, v11, vcc
	v_subrev_co_u32_e64 v10, s[2:3], s28, v14
	v_subb_co_u32_e32 v1, vcc, v7, v1, vcc
	s_nop 0
	v_subbrev_co_u32_e64 v5, s[2:3], 0, v5, s[2:3]
	v_cmp_le_u32_e64 s[2:3], s29, v5
	v_cmp_le_u32_e32 vcc, s29, v1
	s_nop 0
	v_cndmask_b32_e64 v11, 0, -1, s[2:3]
	v_cmp_le_u32_e64 s[2:3], s28, v10
	s_nop 1
	v_cndmask_b32_e64 v10, 0, -1, s[2:3]
	v_cmp_eq_u32_e64 s[2:3], s29, v5
	s_nop 1
	v_cndmask_b32_e64 v5, v11, v10, s[2:3]
	v_lshl_add_u64 v[10:11], v[8:9], 0, 2
	v_cmp_ne_u32_e64 s[2:3], 0, v5
	s_nop 1
	v_cndmask_b32_e64 v5, v13, v11, s[2:3]
	v_cndmask_b32_e64 v11, 0, -1, vcc
	v_cmp_le_u32_e32 vcc, s28, v14
	s_nop 1
	v_cndmask_b32_e64 v13, 0, -1, vcc
	v_cmp_eq_u32_e32 vcc, s29, v1
	s_nop 1
	v_cndmask_b32_e32 v1, v11, v13, vcc
	v_cmp_ne_u32_e32 vcc, 0, v1
	v_cndmask_b32_e64 v1, v12, v10, s[2:3]
	s_nop 0
	v_cndmask_b32_e32 v27, v9, v5, vcc
	v_cndmask_b32_e32 v26, v8, v1, vcc
.LBB0_4:                                ;   in Loop: Header=BB0_2 Depth=1
	s_andn2_saveexec_b64 s[2:3], s[30:31]
	s_cbranch_execz .LBB0_6
; %bb.5:                                ;   in Loop: Header=BB0_2 Depth=1
	v_cvt_f32_u32_e32 v1, s28
	s_sub_i32 s30, 0, s28
	v_mov_b32_e32 v27, v4
	v_rcp_iflag_f32_e32 v1, v1
	s_nop 0
	v_mul_f32_e32 v1, 0x4f7ffffe, v1
	v_cvt_u32_f32_e32 v1, v1
	v_mul_lo_u32 v5, s30, v1
	v_mul_hi_u32 v5, v1, v5
	v_add_u32_e32 v1, v1, v5
	v_mul_hi_u32 v1, v6, v1
	v_mul_lo_u32 v5, v1, s28
	v_sub_u32_e32 v5, v6, v5
	v_add_u32_e32 v8, 1, v1
	v_subrev_u32_e32 v9, s28, v5
	v_cmp_le_u32_e32 vcc, s28, v5
	s_nop 1
	v_cndmask_b32_e32 v5, v5, v9, vcc
	v_cndmask_b32_e32 v1, v1, v8, vcc
	v_add_u32_e32 v8, 1, v1
	v_cmp_le_u32_e32 vcc, s28, v5
	s_nop 1
	v_cndmask_b32_e32 v26, v1, v8, vcc
.LBB0_6:                                ;   in Loop: Header=BB0_2 Depth=1
	s_or_b64 exec, exec, s[2:3]
	v_mad_u64_u32 v[8:9], s[2:3], v26, s28, 0
	s_load_dwordx2 s[2:3], s[22:23], 0x0
	v_mul_lo_u32 v1, v27, s28
	v_mul_lo_u32 v5, v26, s29
	s_load_dwordx2 s[28:29], s[20:21], 0x0
	s_add_u32 s26, s26, 1
	v_add3_u32 v1, v9, v5, v1
	v_sub_co_u32_e32 v5, vcc, v6, v8
	s_addc_u32 s27, s27, 0
	s_nop 0
	v_subb_co_u32_e32 v1, vcc, v7, v1, vcc
	s_add_u32 s20, s20, 8
	s_waitcnt lgkmcnt(0)
	v_mul_lo_u32 v6, s2, v1
	v_mul_lo_u32 v7, s3, v5
	v_mad_u64_u32 v[2:3], s[2:3], s2, v5, v[2:3]
	s_addc_u32 s21, s21, 0
	v_add3_u32 v3, v7, v3, v6
	v_mul_lo_u32 v1, s28, v1
	v_mul_lo_u32 v6, s29, v5
	v_mad_u64_u32 v[24:25], s[2:3], s28, v5, v[24:25]
	s_add_u32 s22, s22, 8
	v_add3_u32 v25, v6, v25, v1
	s_addc_u32 s23, s23, 0
	v_mov_b64_e32 v[6:7], s[10:11]
	s_add_u32 s24, s24, 8
	v_cmp_ge_u64_e32 vcc, s[26:27], v[6:7]
	s_addc_u32 s25, s25, 0
	s_cbranch_vccnz .LBB0_9
; %bb.7:                                ;   in Loop: Header=BB0_2 Depth=1
	v_mov_b64_e32 v[6:7], v[26:27]
	s_branch .LBB0_2
.LBB0_8:
	v_mov_b64_e32 v[24:25], v[2:3]
	v_mov_b64_e32 v[26:27], v[6:7]
.LBB0_9:
	s_load_dwordx2 s[0:1], s[0:1], 0x28
	s_lshl_b64 s[10:11], s[10:11], 3
	s_add_u32 s2, s14, s10
	s_addc_u32 s3, s15, s11
                                        ; implicit-def: $vgpr68
	s_waitcnt lgkmcnt(0)
	v_cmp_gt_u64_e32 vcc, s[0:1], v[26:27]
	v_cmp_le_u64_e64 s[0:1], s[0:1], v[26:27]
	s_and_saveexec_b64 s[14:15], s[0:1]
	s_xor_b64 s[0:1], exec, s[14:15]
; %bb.10:
	s_mov_b32 s14, 0x5d1745e
	v_mul_hi_u32 v1, v0, s14
	v_mul_u32_u24_e32 v1, 44, v1
	v_sub_u32_e32 v68, v0, v1
                                        ; implicit-def: $vgpr0
                                        ; implicit-def: $vgpr2_vgpr3
; %bb.11:
	s_andn2_saveexec_b64 s[0:1], s[0:1]
	s_cbranch_execz .LBB0_13
; %bb.12:
	s_add_u32 s10, s12, s10
	s_addc_u32 s11, s13, s11
	s_load_dwordx2 s[10:11], s[10:11], 0x0
	s_mov_b32 s12, 0x5d1745e
	s_waitcnt lgkmcnt(0)
	v_mul_lo_u32 v1, s11, v26
	v_mul_lo_u32 v6, s10, v27
	v_mad_u64_u32 v[4:5], s[10:11], s10, v26, 0
	v_add3_u32 v5, v5, v6, v1
	v_mul_hi_u32 v1, v0, s12
	v_mul_u32_u24_e32 v1, 44, v1
	v_sub_u32_e32 v68, v0, v1
	v_mad_u64_u32 v[0:1], s[10:11], s18, v68, 0
	v_mov_b32_e32 v6, v1
	v_mad_u64_u32 v[6:7], s[10:11], s19, v68, v[6:7]
	v_lshl_add_u64 v[4:5], v[4:5], 3, s[4:5]
	v_add_u32_e32 v7, 44, v68
	v_lshl_add_u64 v[2:3], v[2:3], 3, v[4:5]
	v_mad_u64_u32 v[4:5], s[4:5], s18, v7, 0
	v_mov_b32_e32 v1, v6
	v_mov_b32_e32 v6, v5
	v_mad_u64_u32 v[6:7], s[4:5], s19, v7, v[6:7]
	v_add_u32_e32 v9, 0x58, v68
	v_mov_b32_e32 v5, v6
	v_mad_u64_u32 v[6:7], s[4:5], s18, v9, 0
	v_mov_b32_e32 v8, v7
	v_mad_u64_u32 v[8:9], s[4:5], s19, v9, v[8:9]
	v_add_u32_e32 v11, 0x84, v68
	v_mov_b32_e32 v7, v8
	v_mad_u64_u32 v[8:9], s[4:5], s18, v11, 0
	v_mov_b32_e32 v10, v9
	v_mad_u64_u32 v[10:11], s[4:5], s19, v11, v[10:11]
	v_lshl_add_u64 v[0:1], v[0:1], 3, v[2:3]
	v_lshl_add_u64 v[4:5], v[4:5], 3, v[2:3]
	v_mov_b32_e32 v9, v10
	v_lshl_add_u64 v[6:7], v[6:7], 3, v[2:3]
	v_lshl_add_u64 v[8:9], v[8:9], 3, v[2:3]
	global_load_dwordx2 v[10:11], v[0:1], off
	global_load_dwordx2 v[12:13], v[4:5], off
	;; [unrolled: 1-line block ×4, first 2 shown]
	v_add_u32_e32 v5, 0xb0, v68
	v_mad_u64_u32 v[0:1], s[4:5], s18, v5, 0
	v_mov_b32_e32 v4, v1
	v_mad_u64_u32 v[4:5], s[4:5], s19, v5, v[4:5]
	v_add_u32_e32 v7, 0xdc, v68
	v_mov_b32_e32 v1, v4
	v_mad_u64_u32 v[4:5], s[4:5], s18, v7, 0
	v_mov_b32_e32 v6, v5
	v_mad_u64_u32 v[6:7], s[4:5], s19, v7, v[6:7]
	v_add_u32_e32 v9, 0x108, v68
	v_mov_b32_e32 v5, v6
	v_mad_u64_u32 v[6:7], s[4:5], s18, v9, 0
	v_mov_b32_e32 v8, v7
	v_mad_u64_u32 v[8:9], s[4:5], s19, v9, v[8:9]
	v_lshl_add_u64 v[0:1], v[0:1], 3, v[2:3]
	v_mov_b32_e32 v7, v8
	v_lshl_add_u64 v[4:5], v[4:5], 3, v[2:3]
	v_lshl_add_u64 v[2:3], v[6:7], 3, v[2:3]
	global_load_dwordx2 v[6:7], v[0:1], off
	global_load_dwordx2 v[8:9], v[4:5], off
	;; [unrolled: 1-line block ×3, first 2 shown]
	v_lshl_add_u32 v0, v68, 3, 0
	s_waitcnt vmcnt(5)
	ds_write2_b64 v0, v[10:11], v[12:13] offset1:44
	s_waitcnt vmcnt(3)
	ds_write2_b64 v0, v[14:15], v[16:17] offset0:88 offset1:132
	s_waitcnt vmcnt(1)
	ds_write2_b64 v0, v[6:7], v[8:9] offset0:176 offset1:220
	s_waitcnt vmcnt(0)
	ds_write_b64 v0, v[18:19] offset:2112
.LBB0_13:
	s_or_b64 exec, exec, s[0:1]
	v_lshl_add_u32 v69, v68, 3, 0
	s_waitcnt lgkmcnt(0)
	; wave barrier
	s_waitcnt lgkmcnt(0)
	ds_read2_b64 v[4:7], v69 offset1:28
	ds_read_b64 v[66:67], v69 offset:2240
	ds_read2_b64 v[20:23], v69 offset0:56 offset1:84
	ds_read2_b64 v[16:19], v69 offset0:112 offset1:140
	ds_read2_b64 v[12:15], v69 offset0:168 offset1:196
	ds_read2_b64 v[8:11], v69 offset0:224 offset1:252
	s_waitcnt lgkmcnt(4)
	v_pk_add_f32 v[30:31], v[6:7], v[66:67] neg_lo:[0,1] neg_hi:[0,1]
	s_mov_b32 s14, 0xbf4178ce
	v_pk_add_f32 v[0:1], v[66:67], v[6:7]
	s_mov_b32 s12, 0xbf27a4f4
	v_pk_mul_f32 v[2:3], v[30:31], s[14:15] op_sel_hi:[1,0]
	s_waitcnt lgkmcnt(0)
	v_pk_add_f32 v[34:35], v[20:21], v[10:11] neg_lo:[0,1] neg_hi:[0,1]
	s_mov_b32 s30, 0x3f7d64f0
	v_pk_fma_f32 v[48:49], v[0:1], s[12:13], v[2:3] op_sel:[0,0,1] op_sel_hi:[1,0,0]
	v_pk_fma_f32 v[44:45], v[0:1], s[12:13], v[2:3] op_sel:[0,0,1] op_sel_hi:[1,0,0] neg_lo:[0,0,1] neg_hi:[0,0,1]
	v_pk_add_f32 v[28:29], v[10:11], v[20:21]
	s_mov_b32 s10, 0xbe11bafb
	v_pk_mul_f32 v[32:33], v[34:35], s[30:31] op_sel_hi:[1,0]
	v_mov_b32_e32 v2, v48
	v_mov_b32_e32 v3, v45
	v_pk_fma_f32 v[52:53], v[28:29], s[10:11], v[32:33] op_sel:[0,0,1] op_sel_hi:[1,0,0]
	v_pk_fma_f32 v[50:51], v[28:29], s[10:11], v[32:33] op_sel:[0,0,1] op_sel_hi:[1,0,0] neg_lo:[0,0,1] neg_hi:[0,0,1]
	v_pk_add_f32 v[2:3], v[4:5], v[2:3]
	v_mov_b32_e32 v32, v52
	v_mov_b32_e32 v33, v51
	v_pk_add_f32 v[36:37], v[22:23], v[8:9] neg_lo:[0,1] neg_hi:[0,1]
	s_mov_b32 s28, 0xbf0a6770
	v_pk_add_f32 v[2:3], v[32:33], v[2:3]
	v_pk_add_f32 v[32:33], v[8:9], v[22:23]
	s_mov_b32 s18, 0x3f575c64
	v_pk_mul_f32 v[38:39], v[36:37], s[28:29] op_sel_hi:[1,0]
	v_pk_add_f32 v[40:41], v[16:17], v[14:15] neg_lo:[0,1] neg_hi:[0,1]
	v_pk_fma_f32 v[54:55], v[32:33], s[18:19], v[38:39] op_sel:[0,0,1] op_sel_hi:[1,0,0]
	v_pk_fma_f32 v[56:57], v[32:33], s[18:19], v[38:39] op_sel:[0,0,1] op_sel_hi:[1,0,0] neg_lo:[0,0,1] neg_hi:[0,0,1]
	v_mov_b32_e32 v38, v54
	v_mov_b32_e32 v39, v57
	s_mov_b32 s26, 0xbe903f40
	v_pk_add_f32 v[2:3], v[38:39], v[2:3]
	v_pk_add_f32 v[38:39], v[14:15], v[16:17]
	s_mov_b32 s24, 0xbf75a155
	v_pk_mul_f32 v[42:43], v[40:41], s[26:27] op_sel_hi:[1,0]
	s_mov_b32 s22, 0x3f68dda4
	v_pk_fma_f32 v[58:59], v[38:39], s[24:25], v[42:43] op_sel:[0,0,1] op_sel_hi:[1,0,0]
	v_pk_fma_f32 v[60:61], v[38:39], s[24:25], v[42:43] op_sel:[0,0,1] op_sel_hi:[1,0,0] neg_lo:[0,0,1] neg_hi:[0,0,1]
	v_mov_b32_e32 v42, v58
	v_mov_b32_e32 v43, v61
	v_pk_add_f32 v[46:47], v[18:19], v[12:13] neg_lo:[0,1] neg_hi:[0,1]
	v_pk_add_f32 v[2:3], v[42:43], v[2:3]
	v_pk_add_f32 v[42:43], v[12:13], v[18:19]
	s_mov_b32 s20, 0x3ed4b147
	v_pk_mul_f32 v[64:65], v[46:47], s[22:23] op_sel_hi:[1,0]
	v_cmp_gt_u32_e64 s[0:1], 28, v68
	v_pk_fma_f32 v[62:63], v[42:43], s[20:21], v[64:65] op_sel:[0,0,1] op_sel_hi:[1,0,0]
	v_pk_fma_f32 v[64:65], v[42:43], s[20:21], v[64:65] op_sel:[0,0,1] op_sel_hi:[1,0,0] neg_lo:[0,0,1] neg_hi:[0,0,1]
	v_mov_b32_e32 v70, v62
	v_mov_b32_e32 v71, v65
	v_pk_add_f32 v[2:3], v[70:71], v[2:3]
	s_waitcnt lgkmcnt(0)
	; wave barrier
	s_and_saveexec_b64 s[4:5], s[0:1]
	s_cbranch_execz .LBB0_15
; %bb.14:
	v_pk_add_f32 v[6:7], v[4:5], v[6:7]
	s_mov_b32 s34, 0xbf68dda4
	v_pk_add_f32 v[6:7], v[6:7], v[20:21]
	s_mov_b32 s0, 0xbf7d64f0
	v_pk_add_f32 v[6:7], v[6:7], v[22:23]
	v_pk_mul_f32 v[76:77], v[34:35], s[14:15] op_sel_hi:[1,0]
	v_pk_add_f32 v[6:7], v[6:7], v[16:17]
	v_pk_fma_f32 v[78:79], v[28:29], s[12:13], v[76:77] op_sel:[0,0,1] op_sel_hi:[1,0,0] neg_lo:[0,0,1] neg_hi:[0,0,1]
	v_pk_add_f32 v[6:7], v[6:7], v[18:19]
	v_pk_fma_f32 v[76:77], v[28:29], s[12:13], v[76:77] op_sel:[0,0,1] op_sel_hi:[1,0,0]
	v_pk_add_f32 v[6:7], v[6:7], v[12:13]
	v_mov_b32_e32 v80, v78
	v_pk_add_f32 v[6:7], v[6:7], v[14:15]
	v_pk_mul_f32 v[14:15], v[34:35], s[34:35] op_sel_hi:[1,0]
	v_pk_add_f32 v[6:7], v[6:7], v[8:9]
	v_pk_mul_f32 v[8:9], v[30:31], s[28:29] op_sel_hi:[1,0]
	v_pk_add_f32 v[6:7], v[6:7], v[10:11]
	v_pk_fma_f32 v[10:11], v[0:1], s[18:19], v[8:9] op_sel:[0,0,1] op_sel_hi:[1,0,0] neg_lo:[0,0,1] neg_hi:[0,0,1]
	v_pk_fma_f32 v[8:9], v[0:1], s[18:19], v[8:9] op_sel:[0,0,1] op_sel_hi:[1,0,0]
	v_mov_b32_e32 v12, v10
	v_mov_b32_e32 v13, v9
	v_pk_fma_f32 v[16:17], v[28:29], s[20:21], v[14:15] op_sel:[0,0,1] op_sel_hi:[1,0,0] neg_lo:[0,0,1] neg_hi:[0,0,1]
	v_pk_fma_f32 v[14:15], v[28:29], s[20:21], v[14:15] op_sel:[0,0,1] op_sel_hi:[1,0,0]
	v_pk_add_f32 v[12:13], v[4:5], v[12:13]
	v_mov_b32_e32 v18, v16
	v_mov_b32_e32 v19, v15
	v_pk_add_f32 v[12:13], v[18:19], v[12:13]
	v_pk_mul_f32 v[18:19], v[36:37], s[0:1] op_sel_hi:[1,0]
	v_pk_add_f32 v[6:7], v[6:7], v[66:67]
	v_pk_fma_f32 v[20:21], v[32:33], s[10:11], v[18:19] op_sel:[0,0,1] op_sel_hi:[1,0,0] neg_lo:[0,0,1] neg_hi:[0,0,1]
	v_pk_fma_f32 v[18:19], v[32:33], s[10:11], v[18:19] op_sel:[0,0,1] op_sel_hi:[1,0,0]
	v_mov_b32_e32 v22, v20
	v_mov_b32_e32 v23, v19
	v_pk_add_f32 v[12:13], v[22:23], v[12:13]
	v_pk_mul_f32 v[22:23], v[40:41], s[14:15] op_sel_hi:[1,0]
	s_movk_i32 s1, 0x50
	v_pk_fma_f32 v[66:67], v[38:39], s[12:13], v[22:23] op_sel:[0,0,1] op_sel_hi:[1,0,0] neg_lo:[0,0,1] neg_hi:[0,0,1]
	v_pk_fma_f32 v[22:23], v[38:39], s[12:13], v[22:23] op_sel:[0,0,1] op_sel_hi:[1,0,0]
	v_mov_b32_e32 v70, v66
	v_mov_b32_e32 v71, v23
	v_pk_add_f32 v[12:13], v[70:71], v[12:13]
	v_pk_mul_f32 v[70:71], v[46:47], s[26:27] op_sel_hi:[1,0]
	v_mad_u32_u24 v10, v68, s1, v69
	v_pk_fma_f32 v[72:73], v[42:43], s[24:25], v[70:71] op_sel:[0,0,1] op_sel_hi:[1,0,0] neg_lo:[0,0,1] neg_hi:[0,0,1]
	v_pk_fma_f32 v[70:71], v[42:43], s[24:25], v[70:71] op_sel:[0,0,1] op_sel_hi:[1,0,0]
	v_mov_b32_e32 v74, v72
	v_mov_b32_e32 v75, v71
	v_pk_add_f32 v[12:13], v[74:75], v[12:13]
	ds_write2_b64 v10, v[6:7], v[12:13] offset1:1
	v_pk_mul_f32 v[6:7], v[30:31], s[34:35] op_sel_hi:[1,0]
	v_mov_b32_e32 v81, v77
	v_pk_fma_f32 v[12:13], v[0:1], s[20:21], v[6:7] op_sel:[0,0,1] op_sel_hi:[1,0,0] neg_lo:[0,0,1] neg_hi:[0,0,1]
	v_pk_fma_f32 v[6:7], v[0:1], s[20:21], v[6:7] op_sel:[0,0,1] op_sel_hi:[1,0,0]
	v_mov_b32_e32 v74, v12
	v_mov_b32_e32 v75, v7
	v_pk_add_f32 v[74:75], v[4:5], v[74:75]
	s_mov_b32 s34, 0x3e903f40
	v_pk_add_f32 v[74:75], v[80:81], v[74:75]
	v_pk_mul_f32 v[80:81], v[36:37], s[34:35] op_sel_hi:[1,0]
	v_pk_mul_f32 v[98:99], v[34:35], s[34:35] op_sel_hi:[1,0]
	v_pk_fma_f32 v[82:83], v[32:33], s[24:25], v[80:81] op_sel:[0,0,1] op_sel_hi:[1,0,0] neg_lo:[0,0,1] neg_hi:[0,0,1]
	v_pk_fma_f32 v[80:81], v[32:33], s[24:25], v[80:81] op_sel:[0,0,1] op_sel_hi:[1,0,0]
	v_mov_b32_e32 v84, v82
	v_mov_b32_e32 v85, v81
	v_pk_add_f32 v[74:75], v[84:85], v[74:75]
	v_pk_mul_f32 v[84:85], v[40:41], s[30:31] op_sel_hi:[1,0]
	s_mov_b32 s30, 0x3f0a6770
	v_pk_fma_f32 v[86:87], v[38:39], s[10:11], v[84:85] op_sel:[0,0,1] op_sel_hi:[1,0,0] neg_lo:[0,0,1] neg_hi:[0,0,1]
	v_pk_fma_f32 v[84:85], v[38:39], s[10:11], v[84:85] op_sel:[0,0,1] op_sel_hi:[1,0,0]
	v_mov_b32_e32 v88, v86
	v_mov_b32_e32 v89, v85
	v_pk_add_f32 v[74:75], v[88:89], v[74:75]
	v_pk_mul_f32 v[88:89], v[46:47], s[30:31] op_sel_hi:[1,0]
	v_pk_fma_f32 v[100:101], v[28:29], s[24:25], v[98:99] op_sel:[0,0,1] op_sel_hi:[1,0,0] neg_lo:[0,0,1] neg_hi:[0,0,1]
	v_pk_fma_f32 v[90:91], v[42:43], s[18:19], v[88:89] op_sel:[0,0,1] op_sel_hi:[1,0,0] neg_lo:[0,0,1] neg_hi:[0,0,1]
	v_pk_fma_f32 v[88:89], v[42:43], s[18:19], v[88:89] op_sel:[0,0,1] op_sel_hi:[1,0,0]
	v_mov_b32_e32 v92, v90
	v_mov_b32_e32 v93, v89
	v_pk_add_f32 v[74:75], v[92:93], v[74:75]
	v_pk_mul_f32 v[92:93], v[30:31], s[0:1] op_sel_hi:[1,0]
	v_pk_mul_f32 v[30:31], v[30:31], s[26:27] op_sel_hi:[1,0]
	v_pk_fma_f32 v[94:95], v[0:1], s[10:11], v[92:93] op_sel:[0,0,1] op_sel_hi:[1,0,0] neg_lo:[0,0,1] neg_hi:[0,0,1]
	v_pk_fma_f32 v[92:93], v[0:1], s[10:11], v[92:93] op_sel:[0,0,1] op_sel_hi:[1,0,0]
	v_mov_b32_e32 v96, v94
	v_mov_b32_e32 v97, v93
	v_pk_fma_f32 v[98:99], v[28:29], s[24:25], v[98:99] op_sel:[0,0,1] op_sel_hi:[1,0,0]
	v_mov_b32_e32 v45, v49
	v_pk_fma_f32 v[48:49], v[0:1], s[24:25], v[30:31] op_sel:[0,0,1] op_sel_hi:[1,0,0] neg_lo:[0,0,1] neg_hi:[0,0,1]
	v_pk_fma_f32 v[0:1], v[0:1], s[24:25], v[30:31] op_sel:[0,0,1] op_sel_hi:[1,0,0]
	v_pk_mul_f32 v[30:31], v[34:35], s[30:31] op_sel_hi:[1,0]
	v_pk_add_f32 v[96:97], v[4:5], v[96:97]
	v_mov_b32_e32 v102, v100
	v_mov_b32_e32 v103, v99
	v_mov_b32_e32 v51, v53
	v_pk_add_f32 v[44:45], v[4:5], v[44:45]
	v_pk_fma_f32 v[34:35], v[28:29], s[18:19], v[30:31] op_sel:[0,0,1] op_sel_hi:[1,0,0] neg_lo:[0,0,1] neg_hi:[0,0,1]
	v_pk_fma_f32 v[28:29], v[28:29], s[18:19], v[30:31] op_sel:[0,0,1] op_sel_hi:[1,0,0]
	v_mov_b32_e32 v30, v48
	v_mov_b32_e32 v31, v1
	v_pk_add_f32 v[96:97], v[102:103], v[96:97]
	v_pk_mul_f32 v[102:103], v[36:37], s[22:23] op_sel_hi:[1,0]
	v_pk_add_f32 v[44:45], v[50:51], v[44:45]
	v_pk_add_f32 v[30:31], v[4:5], v[30:31]
	v_mov_b32_e32 v50, v34
	v_mov_b32_e32 v51, v29
	v_pk_mul_f32 v[36:37], v[36:37], s[14:15] op_sel_hi:[1,0]
	v_pk_fma_f32 v[104:105], v[32:33], s[20:21], v[102:103] op_sel:[0,0,1] op_sel_hi:[1,0,0] neg_lo:[0,0,1] neg_hi:[0,0,1]
	v_pk_fma_f32 v[102:103], v[32:33], s[20:21], v[102:103] op_sel:[0,0,1] op_sel_hi:[1,0,0]
	v_pk_add_f32 v[30:31], v[50:51], v[30:31]
	v_pk_fma_f32 v[50:51], v[32:33], s[12:13], v[36:37] op_sel:[0,0,1] op_sel_hi:[1,0,0] neg_lo:[0,0,1] neg_hi:[0,0,1]
	v_pk_fma_f32 v[32:33], v[32:33], s[12:13], v[36:37] op_sel:[0,0,1] op_sel_hi:[1,0,0]
	v_mov_b32_e32 v36, v50
	v_mov_b32_e32 v37, v33
	;; [unrolled: 1-line block ×4, first 2 shown]
	v_pk_add_f32 v[30:31], v[36:37], v[30:31]
	v_pk_mul_f32 v[36:37], v[40:41], s[22:23] op_sel_hi:[1,0]
	v_pk_add_f32 v[96:97], v[106:107], v[96:97]
	v_pk_mul_f32 v[106:107], v[40:41], s[28:29] op_sel_hi:[1,0]
	v_pk_fma_f32 v[40:41], v[38:39], s[20:21], v[36:37] op_sel:[0,0,1] op_sel_hi:[1,0,0] neg_lo:[0,0,1] neg_hi:[0,0,1]
	v_pk_fma_f32 v[36:37], v[38:39], s[20:21], v[36:37] op_sel:[0,0,1] op_sel_hi:[1,0,0]
	v_mov_b32_e32 v1, v49
	v_pk_fma_f32 v[108:109], v[38:39], s[18:19], v[106:107] op_sel:[0,0,1] op_sel_hi:[1,0,0] neg_lo:[0,0,1] neg_hi:[0,0,1]
	v_pk_fma_f32 v[106:107], v[38:39], s[18:19], v[106:107] op_sel:[0,0,1] op_sel_hi:[1,0,0]
	v_mov_b32_e32 v38, v40
	v_mov_b32_e32 v39, v37
	;; [unrolled: 1-line block ×3, first 2 shown]
	v_pk_add_f32 v[0:1], v[4:5], v[0:1]
	v_mov_b32_e32 v110, v108
	v_mov_b32_e32 v111, v107
	v_pk_add_f32 v[30:31], v[38:39], v[30:31]
	v_pk_mul_f32 v[38:39], v[46:47], s[0:1] op_sel_hi:[1,0]
	v_pk_add_f32 v[0:1], v[28:29], v[0:1]
	v_mov_b32_e32 v33, v51
	v_pk_add_f32 v[96:97], v[110:111], v[96:97]
	v_pk_mul_f32 v[110:111], v[46:47], s[14:15] op_sel_hi:[1,0]
	v_pk_fma_f32 v[46:47], v[42:43], s[10:11], v[38:39] op_sel:[0,0,1] op_sel_hi:[1,0,0] neg_lo:[0,0,1] neg_hi:[0,0,1]
	v_pk_fma_f32 v[38:39], v[42:43], s[10:11], v[38:39] op_sel:[0,0,1] op_sel_hi:[1,0,0]
	v_pk_add_f32 v[0:1], v[32:33], v[0:1]
	v_mov_b32_e32 v37, v41
	v_pk_fma_f32 v[112:113], v[42:43], s[12:13], v[110:111] op_sel:[0,0,1] op_sel_hi:[1,0,0] neg_lo:[0,0,1] neg_hi:[0,0,1]
	v_pk_fma_f32 v[110:111], v[42:43], s[12:13], v[110:111] op_sel:[0,0,1] op_sel_hi:[1,0,0]
	v_mov_b32_e32 v43, v39
	v_pk_add_f32 v[0:1], v[36:37], v[0:1]
	v_mov_b32_e32 v39, v47
	v_pk_add_f32 v[0:1], v[38:39], v[0:1]
	v_mov_b32_e32 v93, v95
	v_mov_b32_e32 v7, v13
	ds_write2_b64 v10, v[0:1], v[2:3] offset0:6 offset1:7
	v_mov_b32_e32 v99, v101
	v_pk_add_f32 v[0:1], v[4:5], v[92:93]
	v_pk_add_f32 v[6:7], v[4:5], v[6:7]
	v_mov_b32_e32 v77, v79
	v_pk_add_f32 v[0:1], v[98:99], v[0:1]
	v_mov_b32_e32 v103, v105
	;; [unrolled: 2-line block ×5, first 2 shown]
	v_mov_b32_e32 v115, v111
	v_pk_add_f32 v[0:1], v[106:107], v[0:1]
	v_mov_b32_e32 v111, v113
	v_pk_add_f32 v[6:7], v[84:85], v[6:7]
	v_mov_b32_e32 v89, v91
	v_pk_add_f32 v[0:1], v[110:111], v[0:1]
	v_pk_add_f32 v[6:7], v[88:89], v[6:7]
	v_mov_b32_e32 v9, v11
	ds_write2_b64 v10, v[0:1], v[6:7] offset0:8 offset1:9
	v_pk_add_f32 v[0:1], v[4:5], v[8:9]
	v_mov_b32_e32 v15, v17
	v_mov_b32_e32 v57, v55
	v_pk_add_f32 v[0:1], v[14:15], v[0:1]
	v_mov_b32_e32 v19, v21
	v_pk_add_f32 v[44:45], v[56:57], v[44:45]
	;; [unrolled: 2-line block ×3, first 2 shown]
	v_mov_b32_e32 v23, v67
	v_mov_b32_e32 v114, v112
	v_pk_add_f32 v[44:45], v[60:61], v[44:45]
	v_mov_b32_e32 v65, v63
	v_mov_b32_e32 v42, v46
	v_pk_add_f32 v[0:1], v[22:23], v[0:1]
	v_mov_b32_e32 v71, v73
	v_pk_add_f32 v[96:97], v[114:115], v[96:97]
	v_pk_add_f32 v[44:45], v[64:65], v[44:45]
	;; [unrolled: 1-line block ×4, first 2 shown]
	ds_write2_b64 v10, v[74:75], v[96:97] offset0:2 offset1:3
	ds_write2_b64 v10, v[44:45], v[30:31] offset0:4 offset1:5
	ds_write_b64 v10, v[0:1] offset:80
.LBB0_15:
	s_or_b64 exec, exec, s[4:5]
	s_movk_i32 s0, 0x75
	v_mul_lo_u16_sdwa v0, v68, s0 dst_sel:DWORD dst_unused:UNUSED_PAD src0_sel:BYTE_0 src1_sel:DWORD
	v_sub_u16_sdwa v1, v68, v0 dst_sel:DWORD dst_unused:UNUSED_PAD src0_sel:DWORD src1_sel:BYTE_1
	v_lshrrev_b16_e32 v1, 1, v1
	v_and_b32_e32 v1, 0x7f, v1
	v_add_u16_sdwa v0, v1, v0 dst_sel:DWORD dst_unused:UNUSED_PAD src0_sel:DWORD src1_sel:BYTE_1
	v_lshrrev_b16_e32 v36, 3, v0
	v_mul_lo_u16_e32 v0, 11, v36
	v_sub_u16_e32 v37, v68, v0
	v_mov_b32_e32 v0, 6
	v_mul_u32_u24_sdwa v0, v37, v0 dst_sel:DWORD dst_unused:UNUSED_PAD src0_sel:BYTE_0 src1_sel:DWORD
	v_lshlrev_b32_e32 v0, 3, v0
	s_load_dwordx2 s[2:3], s[2:3], 0x0
	s_waitcnt lgkmcnt(0)
	; wave barrier
	s_waitcnt lgkmcnt(0)
	global_load_dwordx4 v[4:7], v0, s[8:9]
	global_load_dwordx4 v[8:11], v0, s[8:9] offset:16
	global_load_dwordx4 v[12:15], v0, s[8:9] offset:32
	ds_read2_b64 v[16:19], v69 offset1:44
	ds_read2_b64 v[20:23], v69 offset0:88 offset1:132
	ds_read2_b64 v[28:31], v69 offset0:176 offset1:220
	ds_read_b64 v[0:1], v69 offset:2112
	s_mov_b32 s18, 0xbf08b237
	s_mov_b32 s10, 0x3d64c772
	;; [unrolled: 1-line block ×8, first 2 shown]
	s_waitcnt lgkmcnt(0)
	; wave barrier
	s_waitcnt vmcnt(2) lgkmcnt(0)
	v_mul_f32_e32 v32, v5, v19
	v_mul_f32_e32 v33, v5, v18
	;; [unrolled: 1-line block ×4, first 2 shown]
	s_waitcnt vmcnt(1)
	v_mul_f32_e32 v35, v9, v23
	v_mul_f32_e32 v7, v9, v22
	;; [unrolled: 1-line block ×4, first 2 shown]
	s_waitcnt vmcnt(0)
	v_mul_f32_e32 v39, v13, v31
	v_mul_f32_e32 v11, v13, v30
	;; [unrolled: 1-line block ×4, first 2 shown]
	v_fma_f32 v32, v4, v18, -v32
	v_fmac_f32_e32 v33, v4, v19
	v_fma_f32 v4, v6, v20, -v34
	v_fmac_f32_e32 v5, v6, v21
	v_fma_f32 v6, v8, v22, -v35
	v_fmac_f32_e32 v7, v8, v23
	v_fma_f32 v8, v10, v28, -v38
	v_fmac_f32_e32 v9, v10, v29
	v_fma_f32 v10, v12, v30, -v39
	v_fmac_f32_e32 v11, v12, v31
	v_fma_f32 v12, v14, v0, -v40
	v_fmac_f32_e32 v13, v14, v1
	v_pk_add_f32 v[0:1], v[32:33], v[12:13]
	v_pk_add_f32 v[14:15], v[4:5], v[10:11]
	v_pk_add_f32 v[4:5], v[4:5], v[10:11] neg_lo:[0,1] neg_hi:[0,1]
	v_pk_add_f32 v[10:11], v[6:7], v[8:9]
	v_pk_add_f32 v[6:7], v[8:9], v[6:7] neg_lo:[0,1] neg_hi:[0,1]
	v_pk_add_f32 v[8:9], v[14:15], v[0:1]
	v_pk_add_f32 v[12:13], v[32:33], v[12:13] neg_lo:[0,1] neg_hi:[0,1]
	v_pk_add_f32 v[18:19], v[14:15], v[0:1] neg_lo:[0,1] neg_hi:[0,1]
	v_sub_f32_e32 v34, v1, v11
	v_pk_add_f32 v[14:15], v[10:11], v[14:15] neg_lo:[0,1] neg_hi:[0,1]
	v_pk_add_f32 v[22:23], v[6:7], v[4:5] op_sel:[1,1] op_sel_hi:[0,0] neg_lo:[0,1] neg_hi:[0,1]
	v_mov_b32_e32 v29, v11
	v_mov_b32_e32 v28, v8
	;; [unrolled: 1-line block ×3, first 2 shown]
	v_pk_add_f32 v[20:21], v[6:7], v[4:5] op_sel:[1,1] op_sel_hi:[0,0]
	v_pk_add_f32 v[4:5], v[4:5], v[12:13] op_sel:[1,1] op_sel_hi:[0,0] neg_lo:[0,1] neg_hi:[0,1]
	v_pk_mul_f32 v[22:23], v[22:23], s[18:19] op_sel_hi:[1,0]
	v_pk_add_f32 v[28:29], v[28:29], v[10:11]
	v_mov_b32_e32 v1, v13
	v_pk_add_f32 v[8:9], v[20:21], v[12:13] op_sel:[0,1] op_sel_hi:[1,0]
	v_pk_mul_f32 v[14:15], v[14:15], s[10:11] op_sel_hi:[1,0]
	v_pk_mul_f32 v[30:31], v[4:5], s[20:21] op_sel_hi:[1,0]
	v_pk_fma_f32 v[4:5], v[4:5], s[20:21], v[22:23] op_sel_hi:[1,0,1] neg_lo:[0,0,1] neg_hi:[0,0,1]
	v_mov_b32_e32 v11, v7
	v_pk_add_f32 v[16:17], v[28:29], v[16:17]
	v_sub_f32_e32 v35, v12, v6
	v_mul_f32_e32 v13, 0x3f4a47b2, v34
	v_pk_mul_f32 v[20:21], v[18:19], s[12:13] op_sel_hi:[1,0]
	v_pk_mul_f32 v[32:33], v[8:9], s[14:15] op_sel_hi:[1,0]
	v_fmamk_f32 v34, v34, 0x3f4a47b2, v15
	v_pk_fma_f32 v[18:19], v[18:19], s[12:13], v[14:15] op_sel_hi:[1,0,1] neg_lo:[0,0,1] neg_hi:[0,0,1]
	v_mov_b32_e32 v15, v22
	v_pk_add_f32 v[0:1], v[0:1], v[10:11] neg_lo:[0,1] neg_hi:[0,1]
	v_pk_fma_f32 v[8:9], v[8:9], s[14:15], v[4:5] op_sel_hi:[1,0,1]
	v_pk_fma_f32 v[4:5], v[28:29], s[4:5], v[16:17] op_sel_hi:[1,0,1]
	v_mul_f32_e32 v6, 0x3eae86e6, v35
	v_fmamk_f32 v35, v35, 0x3eae86e6, v23
	v_mov_b32_e32 v12, v31
	v_mov_b32_e32 v7, v21
	;; [unrolled: 1-line block ×3, first 2 shown]
	v_pk_mul_f32 v[28:29], v[0:1], s[0:1]
	v_pk_fma_f32 v[0:1], v[0:1], s[0:1], v[14:15]
	v_mov_b32_e32 v10, v4
	v_add_f32_e32 v23, v33, v35
	v_add_f32_e32 v15, v34, v5
	v_pk_add_f32 v[18:19], v[18:19], v[4:5]
	v_pk_add_f32 v[34:35], v[0:1], v[10:11]
	v_pk_add_f32 v[0:1], v[12:13], v[6:7] neg_lo:[1,1] neg_hi:[1,1]
	v_mov_b32_e32 v4, v33
	v_pk_add_f32 v[12:13], v[4:5], v[0:1]
	v_mov_b32_e32 v0, v28
	v_mov_b32_e32 v1, v30
	;; [unrolled: 1-line block ×3, first 2 shown]
	v_pk_add_f32 v[0:1], v[0:1], v[20:21] neg_lo:[1,1] neg_hi:[1,1]
	v_mov_b32_e32 v14, v35
	v_pk_add_f32 v[10:11], v[0:1], v[10:11]
	v_mov_b32_e32 v1, 3
	v_mul_u32_u24_e32 v0, 0x268, v36
	v_lshlrev_b32_sdwa v1, v1, v37 dst_sel:DWORD dst_unused:UNUSED_PAD src0_sel:DWORD src1_sel:BYTE_0
	v_mov_b32_e32 v22, v34
	v_add3_u32 v28, 0, v0, v1
	v_pk_add_f32 v[0:1], v[14:15], v[22:23]
	v_pk_add_f32 v[6:7], v[14:15], v[22:23] neg_lo:[0,1] neg_hi:[0,1]
	v_pk_add_f32 v[4:5], v[18:19], v[8:9]
	v_pk_add_f32 v[20:21], v[18:19], v[8:9] neg_lo:[0,1] neg_hi:[0,1]
	v_mov_b32_e32 v6, v0
	v_mov_b32_e32 v8, v11
	;; [unrolled: 1-line block ×4, first 2 shown]
	ds_write2_b64 v28, v[16:17], v[6:7] offset1:11
	v_pk_add_f32 v[6:7], v[8:9], v[10:11]
	v_pk_add_f32 v[12:13], v[12:13], v[10:11] neg_lo:[0,1] neg_hi:[0,1]
	v_mov_b32_e32 v16, v20
	v_mov_b32_e32 v12, v6
	;; [unrolled: 1-line block ×3, first 2 shown]
	ds_write2_b64 v28, v[12:13], v[16:17] offset0:22 offset1:33
	v_pk_add_f32 v[16:17], v[10:11], v[8:9] neg_lo:[0,1] neg_hi:[0,1]
	v_pk_add_f32 v[18:19], v[34:35], v[14:15] neg_lo:[0,1] neg_hi:[0,1]
	v_mov_b32_e32 v5, v21
	v_mov_b32_e32 v17, v7
	;; [unrolled: 1-line block ×3, first 2 shown]
	ds_write2_b64 v28, v[4:5], v[16:17] offset0:44 offset1:55
	ds_write_b64 v28, v[18:19] offset:528
	s_waitcnt lgkmcnt(0)
	; wave barrier
	s_waitcnt lgkmcnt(0)
	ds_read2_b64 v[8:11], v69 offset1:77
	ds_read2_b64 v[12:15], v69 offset0:154 offset1:231
	v_cmp_gt_u32_e64 s[0:1], 33, v68
	s_and_saveexec_b64 s[4:5], s[0:1]
	s_cbranch_execz .LBB0_17
; %bb.16:
	v_add_u32_e32 v0, 0x400, v69
	ds_read2_b64 v[4:7], v69 offset0:44 offset1:121
	ds_read2_b64 v[0:3], v0 offset0:70 offset1:147
	s_waitcnt lgkmcnt(1)
	v_mov_b32_e32 v16, v6
	s_waitcnt lgkmcnt(0)
	v_mov_b32_e32 v18, v0
	v_mov_b32_e32 v21, v5
.LBB0_17:
	s_or_b64 exec, exec, s[4:5]
	v_mul_u32_u24_e32 v0, 3, v68
	v_lshlrev_b32_e32 v0, 3, v0
	global_load_dwordx4 v[28:31], v0, s[8:9] offset:528
	global_load_dwordx2 v[22:23], v0, s[8:9] offset:544
	s_waitcnt lgkmcnt(0)
	; wave barrier
	s_waitcnt vmcnt(1) lgkmcnt(0)
	v_pk_mul_f32 v[32:33], v[28:29], v[10:11] op_sel:[0,1]
	v_pk_mul_f32 v[34:35], v[30:31], v[12:13] op_sel:[0,1]
	s_waitcnt vmcnt(0)
	v_pk_mul_f32 v[36:37], v[22:23], v[14:15] op_sel:[0,1]
	v_pk_fma_f32 v[38:39], v[28:29], v[10:11], v[32:33] op_sel:[0,0,1] op_sel_hi:[1,1,0] neg_lo:[0,0,1] neg_hi:[0,0,1]
	v_pk_fma_f32 v[10:11], v[28:29], v[10:11], v[32:33] op_sel:[0,0,1] op_sel_hi:[1,0,0]
	v_pk_fma_f32 v[28:29], v[30:31], v[12:13], v[34:35] op_sel:[0,0,1] op_sel_hi:[1,1,0] neg_lo:[0,0,1] neg_hi:[0,0,1]
	v_pk_fma_f32 v[12:13], v[30:31], v[12:13], v[34:35] op_sel:[0,0,1] op_sel_hi:[1,0,0]
	v_pk_fma_f32 v[30:31], v[22:23], v[14:15], v[36:37] op_sel:[0,0,1] op_sel_hi:[1,1,0] neg_lo:[0,0,1] neg_hi:[0,0,1]
	v_pk_fma_f32 v[14:15], v[22:23], v[14:15], v[36:37] op_sel:[0,0,1] op_sel_hi:[1,0,0]
	v_mov_b32_e32 v39, v11
	v_mov_b32_e32 v29, v13
	;; [unrolled: 1-line block ×3, first 2 shown]
	v_pk_add_f32 v[10:11], v[8:9], v[28:29] neg_lo:[0,1] neg_hi:[0,1]
	v_pk_add_f32 v[12:13], v[38:39], v[30:31] neg_lo:[0,1] neg_hi:[0,1]
	v_pk_fma_f32 v[8:9], v[8:9], 2.0, v[10:11] op_sel_hi:[1,0,1] neg_lo:[0,0,1] neg_hi:[0,0,1]
	v_pk_fma_f32 v[14:15], v[38:39], 2.0, v[12:13] op_sel_hi:[1,0,1] neg_lo:[0,0,1] neg_hi:[0,0,1]
	v_pk_add_f32 v[22:23], v[10:11], v[12:13] op_sel:[0,1] op_sel_hi:[1,0] neg_lo:[0,1] neg_hi:[0,1]
	v_pk_add_f32 v[12:13], v[10:11], v[12:13] op_sel:[0,1] op_sel_hi:[1,0]
	v_pk_add_f32 v[14:15], v[8:9], v[14:15] neg_lo:[0,1] neg_hi:[0,1]
	v_mov_b32_e32 v23, v13
	v_pk_fma_f32 v[8:9], v[8:9], 2.0, v[14:15] op_sel_hi:[1,0,1] neg_lo:[0,0,1] neg_hi:[0,0,1]
	v_pk_fma_f32 v[10:11], v[10:11], 2.0, v[22:23] op_sel_hi:[1,0,1] neg_lo:[0,0,1] neg_hi:[0,0,1]
	ds_write2_b64 v69, v[8:9], v[10:11] offset1:77
	ds_write2_b64 v69, v[14:15], v[22:23] offset0:154 offset1:231
	s_and_saveexec_b64 s[4:5], s[0:1]
	s_cbranch_execz .LBB0_19
; %bb.18:
	v_add_u32_e32 v0, 44, v68
	v_subrev_u32_e32 v5, 33, v68
	v_cndmask_b32_e64 v0, v5, v0, s[0:1]
	v_mul_i32_i24_e32 v8, 3, v0
	v_mov_b32_e32 v9, 0
	v_lshl_add_u64 v[12:13], v[8:9], 3, s[8:9]
	global_load_dwordx4 v[8:11], v[12:13], off offset:528
	global_load_dwordx2 v[14:15], v[12:13], off offset:544
	v_mov_b32_e32 v0, v1
	v_mov_b32_e32 v6, v7
	;; [unrolled: 1-line block ×3, first 2 shown]
	v_add_u32_e32 v17, 0x400, v69
	v_mov_b32_e32 v5, v21
	s_waitcnt vmcnt(1)
	v_pk_mul_f32 v[0:1], v[0:1], v[10:11] op_sel_hi:[0,1]
	v_pk_mul_f32 v[6:7], v[6:7], v[8:9] op_sel_hi:[0,1]
	s_waitcnt vmcnt(0)
	v_pk_mul_f32 v[12:13], v[12:13], v[14:15] op_sel_hi:[0,1]
	v_pk_fma_f32 v[20:21], v[18:19], v[10:11], v[0:1] op_sel:[0,0,1] op_sel_hi:[1,1,0] neg_lo:[0,0,1] neg_hi:[0,0,1]
	v_pk_fma_f32 v[0:1], v[18:19], v[10:11], v[0:1] op_sel:[0,0,1] op_sel_hi:[0,1,0]
	v_pk_fma_f32 v[10:11], v[16:17], v[8:9], v[6:7] op_sel:[0,0,1] op_sel_hi:[1,1,0] neg_lo:[0,0,1] neg_hi:[0,0,1]
	v_pk_fma_f32 v[6:7], v[16:17], v[8:9], v[6:7] op_sel:[0,0,1] op_sel_hi:[0,1,0]
	;; [unrolled: 2-line block ×3, first 2 shown]
	v_mov_b32_e32 v21, v1
	v_mov_b32_e32 v11, v7
	;; [unrolled: 1-line block ×3, first 2 shown]
	v_pk_add_f32 v[0:1], v[4:5], v[20:21] neg_lo:[0,1] neg_hi:[0,1]
	v_pk_add_f32 v[2:3], v[10:11], v[8:9] neg_lo:[0,1] neg_hi:[0,1]
	v_pk_fma_f32 v[4:5], v[4:5], 2.0, v[0:1] op_sel_hi:[1,0,1] neg_lo:[0,0,1] neg_hi:[0,0,1]
	v_pk_fma_f32 v[6:7], v[10:11], 2.0, v[2:3] op_sel_hi:[1,0,1] neg_lo:[0,0,1] neg_hi:[0,0,1]
	v_pk_add_f32 v[8:9], v[0:1], v[2:3] op_sel:[0,1] op_sel_hi:[1,0] neg_lo:[0,1] neg_hi:[0,1]
	v_pk_add_f32 v[2:3], v[0:1], v[2:3] op_sel:[0,1] op_sel_hi:[1,0]
	v_pk_add_f32 v[6:7], v[4:5], v[6:7] neg_lo:[0,1] neg_hi:[0,1]
	v_mov_b32_e32 v9, v3
	v_pk_fma_f32 v[2:3], v[4:5], 2.0, v[6:7] op_sel_hi:[1,0,1] neg_lo:[0,0,1] neg_hi:[0,0,1]
	v_pk_fma_f32 v[0:1], v[0:1], 2.0, v[8:9] op_sel_hi:[1,0,1] neg_lo:[0,0,1] neg_hi:[0,0,1]
	ds_write2_b64 v69, v[2:3], v[0:1] offset0:44 offset1:121
	ds_write2_b64 v17, v[6:7], v[8:9] offset0:70 offset1:147
.LBB0_19:
	s_or_b64 exec, exec, s[4:5]
	s_waitcnt lgkmcnt(0)
	; wave barrier
	s_waitcnt lgkmcnt(0)
	s_and_saveexec_b64 s[0:1], vcc
	s_cbranch_execz .LBB0_21
; %bb.20:
	v_mul_lo_u32 v0, s3, v26
	v_mul_lo_u32 v1, s2, v27
	v_mad_u64_u32 v[4:5], s[0:1], s2, v26, 0
	v_mad_u64_u32 v[6:7], s[0:1], s16, v68, 0
	v_add3_u32 v5, v5, v1, v0
	v_mov_b32_e32 v0, v7
	v_lshl_add_u32 v10, v68, 3, 0
	v_mad_u64_u32 v[8:9], s[0:1], s17, v68, v[0:1]
	ds_read2_b64 v[0:3], v10 offset1:44
	v_lshl_add_u64 v[4:5], v[4:5], 3, s[6:7]
	v_mov_b32_e32 v7, v8
	v_lshl_add_u64 v[4:5], v[24:25], 3, v[4:5]
	v_lshl_add_u64 v[6:7], v[6:7], 3, v[4:5]
	s_waitcnt lgkmcnt(0)
	global_store_dwordx2 v[6:7], v[0:1], off
	v_add_u32_e32 v7, 44, v68
	v_mad_u64_u32 v[0:1], s[0:1], s16, v7, 0
	v_mov_b32_e32 v6, v1
	v_mad_u64_u32 v[6:7], s[0:1], s17, v7, v[6:7]
	v_mov_b32_e32 v1, v6
	v_lshl_add_u64 v[0:1], v[0:1], 3, v[4:5]
	v_add_u32_e32 v9, 0x58, v68
	global_store_dwordx2 v[0:1], v[2:3], off
	v_mad_u64_u32 v[6:7], s[0:1], s16, v9, 0
	ds_read2_b64 v[0:3], v10 offset0:88 offset1:132
	v_mov_b32_e32 v8, v7
	v_mad_u64_u32 v[8:9], s[0:1], s17, v9, v[8:9]
	v_mov_b32_e32 v7, v8
	v_lshl_add_u64 v[6:7], v[6:7], 3, v[4:5]
	s_waitcnt lgkmcnt(0)
	global_store_dwordx2 v[6:7], v[0:1], off
	v_add_u32_e32 v7, 0x84, v68
	v_mad_u64_u32 v[0:1], s[0:1], s16, v7, 0
	v_mov_b32_e32 v6, v1
	v_mad_u64_u32 v[6:7], s[0:1], s17, v7, v[6:7]
	v_mov_b32_e32 v1, v6
	v_lshl_add_u64 v[0:1], v[0:1], 3, v[4:5]
	v_add_u32_e32 v9, 0xb0, v68
	global_store_dwordx2 v[0:1], v[2:3], off
	v_mad_u64_u32 v[6:7], s[0:1], s16, v9, 0
	ds_read2_b64 v[0:3], v10 offset0:176 offset1:220
	v_mov_b32_e32 v8, v7
	v_mad_u64_u32 v[8:9], s[0:1], s17, v9, v[8:9]
	v_mov_b32_e32 v7, v8
	v_lshl_add_u64 v[6:7], v[6:7], 3, v[4:5]
	s_waitcnt lgkmcnt(0)
	global_store_dwordx2 v[6:7], v[0:1], off
	v_add_u32_e32 v7, 0xdc, v68
	v_mad_u64_u32 v[0:1], s[0:1], s16, v7, 0
	v_mov_b32_e32 v6, v1
	v_mad_u64_u32 v[6:7], s[0:1], s17, v7, v[6:7]
	v_mov_b32_e32 v1, v6
	v_lshl_add_u64 v[0:1], v[0:1], 3, v[4:5]
	global_store_dwordx2 v[0:1], v[2:3], off
	v_add_u32_e32 v3, 0x108, v68
	v_mad_u64_u32 v[0:1], s[0:1], s16, v3, 0
	ds_read_b64 v[6:7], v10 offset:2112
	v_mov_b32_e32 v2, v1
	v_mad_u64_u32 v[2:3], s[0:1], s17, v3, v[2:3]
	v_mov_b32_e32 v1, v2
	v_lshl_add_u64 v[0:1], v[0:1], 3, v[4:5]
	s_waitcnt lgkmcnt(0)
	global_store_dwordx2 v[0:1], v[6:7], off
.LBB0_21:
	s_endpgm
	.section	.rodata,"a",@progbits
	.p2align	6, 0x0
	.amdhsa_kernel fft_rtc_fwd_len308_factors_11_7_4_wgs_44_tpt_44_sp_op_CI_CI_sbrr_dirReg
		.amdhsa_group_segment_fixed_size 0
		.amdhsa_private_segment_fixed_size 0
		.amdhsa_kernarg_size 104
		.amdhsa_user_sgpr_count 2
		.amdhsa_user_sgpr_dispatch_ptr 0
		.amdhsa_user_sgpr_queue_ptr 0
		.amdhsa_user_sgpr_kernarg_segment_ptr 1
		.amdhsa_user_sgpr_dispatch_id 0
		.amdhsa_user_sgpr_kernarg_preload_length 0
		.amdhsa_user_sgpr_kernarg_preload_offset 0
		.amdhsa_user_sgpr_private_segment_size 0
		.amdhsa_uses_dynamic_stack 0
		.amdhsa_enable_private_segment 0
		.amdhsa_system_sgpr_workgroup_id_x 1
		.amdhsa_system_sgpr_workgroup_id_y 0
		.amdhsa_system_sgpr_workgroup_id_z 0
		.amdhsa_system_sgpr_workgroup_info 0
		.amdhsa_system_vgpr_workitem_id 0
		.amdhsa_next_free_vgpr 116
		.amdhsa_next_free_sgpr 36
		.amdhsa_accum_offset 116
		.amdhsa_reserve_vcc 1
		.amdhsa_float_round_mode_32 0
		.amdhsa_float_round_mode_16_64 0
		.amdhsa_float_denorm_mode_32 3
		.amdhsa_float_denorm_mode_16_64 3
		.amdhsa_dx10_clamp 1
		.amdhsa_ieee_mode 1
		.amdhsa_fp16_overflow 0
		.amdhsa_tg_split 0
		.amdhsa_exception_fp_ieee_invalid_op 0
		.amdhsa_exception_fp_denorm_src 0
		.amdhsa_exception_fp_ieee_div_zero 0
		.amdhsa_exception_fp_ieee_overflow 0
		.amdhsa_exception_fp_ieee_underflow 0
		.amdhsa_exception_fp_ieee_inexact 0
		.amdhsa_exception_int_div_zero 0
	.end_amdhsa_kernel
	.text
.Lfunc_end0:
	.size	fft_rtc_fwd_len308_factors_11_7_4_wgs_44_tpt_44_sp_op_CI_CI_sbrr_dirReg, .Lfunc_end0-fft_rtc_fwd_len308_factors_11_7_4_wgs_44_tpt_44_sp_op_CI_CI_sbrr_dirReg
                                        ; -- End function
	.section	.AMDGPU.csdata,"",@progbits
; Kernel info:
; codeLenInByte = 5344
; NumSgprs: 42
; NumVgprs: 116
; NumAgprs: 0
; TotalNumVgprs: 116
; ScratchSize: 0
; MemoryBound: 0
; FloatMode: 240
; IeeeMode: 1
; LDSByteSize: 0 bytes/workgroup (compile time only)
; SGPRBlocks: 5
; VGPRBlocks: 14
; NumSGPRsForWavesPerEU: 42
; NumVGPRsForWavesPerEU: 116
; AccumOffset: 116
; Occupancy: 4
; WaveLimiterHint : 1
; COMPUTE_PGM_RSRC2:SCRATCH_EN: 0
; COMPUTE_PGM_RSRC2:USER_SGPR: 2
; COMPUTE_PGM_RSRC2:TRAP_HANDLER: 0
; COMPUTE_PGM_RSRC2:TGID_X_EN: 1
; COMPUTE_PGM_RSRC2:TGID_Y_EN: 0
; COMPUTE_PGM_RSRC2:TGID_Z_EN: 0
; COMPUTE_PGM_RSRC2:TIDIG_COMP_CNT: 0
; COMPUTE_PGM_RSRC3_GFX90A:ACCUM_OFFSET: 28
; COMPUTE_PGM_RSRC3_GFX90A:TG_SPLIT: 0
	.text
	.p2alignl 6, 3212836864
	.fill 256, 4, 3212836864
	.type	__hip_cuid_15bec3cbeb15fe35,@object ; @__hip_cuid_15bec3cbeb15fe35
	.section	.bss,"aw",@nobits
	.globl	__hip_cuid_15bec3cbeb15fe35
__hip_cuid_15bec3cbeb15fe35:
	.byte	0                               ; 0x0
	.size	__hip_cuid_15bec3cbeb15fe35, 1

	.ident	"AMD clang version 19.0.0git (https://github.com/RadeonOpenCompute/llvm-project roc-6.4.0 25133 c7fe45cf4b819c5991fe208aaa96edf142730f1d)"
	.section	".note.GNU-stack","",@progbits
	.addrsig
	.addrsig_sym __hip_cuid_15bec3cbeb15fe35
	.amdgpu_metadata
---
amdhsa.kernels:
  - .agpr_count:     0
    .args:
      - .actual_access:  read_only
        .address_space:  global
        .offset:         0
        .size:           8
        .value_kind:     global_buffer
      - .offset:         8
        .size:           8
        .value_kind:     by_value
      - .actual_access:  read_only
        .address_space:  global
        .offset:         16
        .size:           8
        .value_kind:     global_buffer
      - .actual_access:  read_only
        .address_space:  global
        .offset:         24
        .size:           8
        .value_kind:     global_buffer
      - .actual_access:  read_only
        .address_space:  global
        .offset:         32
        .size:           8
        .value_kind:     global_buffer
      - .offset:         40
        .size:           8
        .value_kind:     by_value
      - .actual_access:  read_only
        .address_space:  global
        .offset:         48
        .size:           8
        .value_kind:     global_buffer
      - .actual_access:  read_only
        .address_space:  global
        .offset:         56
        .size:           8
        .value_kind:     global_buffer
      - .offset:         64
        .size:           4
        .value_kind:     by_value
      - .actual_access:  read_only
        .address_space:  global
        .offset:         72
        .size:           8
        .value_kind:     global_buffer
      - .actual_access:  read_only
        .address_space:  global
        .offset:         80
        .size:           8
        .value_kind:     global_buffer
      - .actual_access:  read_only
        .address_space:  global
        .offset:         88
        .size:           8
        .value_kind:     global_buffer
      - .actual_access:  write_only
        .address_space:  global
        .offset:         96
        .size:           8
        .value_kind:     global_buffer
    .group_segment_fixed_size: 0
    .kernarg_segment_align: 8
    .kernarg_segment_size: 104
    .language:       OpenCL C
    .language_version:
      - 2
      - 0
    .max_flat_workgroup_size: 44
    .name:           fft_rtc_fwd_len308_factors_11_7_4_wgs_44_tpt_44_sp_op_CI_CI_sbrr_dirReg
    .private_segment_fixed_size: 0
    .sgpr_count:     42
    .sgpr_spill_count: 0
    .symbol:         fft_rtc_fwd_len308_factors_11_7_4_wgs_44_tpt_44_sp_op_CI_CI_sbrr_dirReg.kd
    .uniform_work_group_size: 1
    .uses_dynamic_stack: false
    .vgpr_count:     116
    .vgpr_spill_count: 0
    .wavefront_size: 64
amdhsa.target:   amdgcn-amd-amdhsa--gfx950
amdhsa.version:
  - 1
  - 2
...

	.end_amdgpu_metadata
